;; amdgpu-corpus repo=ROCm/rocFFT kind=compiled arch=gfx1030 opt=O3
	.text
	.amdgcn_target "amdgcn-amd-amdhsa--gfx1030"
	.amdhsa_code_object_version 6
	.protected	fft_rtc_back_len2500_factors_10_5_10_5_wgs_250_tpt_250_halfLds_sp_ip_CI_unitstride_sbrr_C2R_dirReg ; -- Begin function fft_rtc_back_len2500_factors_10_5_10_5_wgs_250_tpt_250_halfLds_sp_ip_CI_unitstride_sbrr_C2R_dirReg
	.globl	fft_rtc_back_len2500_factors_10_5_10_5_wgs_250_tpt_250_halfLds_sp_ip_CI_unitstride_sbrr_C2R_dirReg
	.p2align	8
	.type	fft_rtc_back_len2500_factors_10_5_10_5_wgs_250_tpt_250_halfLds_sp_ip_CI_unitstride_sbrr_C2R_dirReg,@function
fft_rtc_back_len2500_factors_10_5_10_5_wgs_250_tpt_250_halfLds_sp_ip_CI_unitstride_sbrr_C2R_dirReg: ; @fft_rtc_back_len2500_factors_10_5_10_5_wgs_250_tpt_250_halfLds_sp_ip_CI_unitstride_sbrr_C2R_dirReg
; %bb.0:
	s_clause 0x2
	s_load_dwordx4 s[8:11], s[4:5], 0x0
	s_load_dwordx2 s[2:3], s[4:5], 0x50
	s_load_dwordx2 s[12:13], s[4:5], 0x18
	v_mul_u32_u24_e32 v1, 0x107, v0
	v_mov_b32_e32 v3, 0
	v_add_nc_u32_sdwa v5, s6, v1 dst_sel:DWORD dst_unused:UNUSED_PAD src0_sel:DWORD src1_sel:WORD_1
	v_mov_b32_e32 v1, 0
	v_mov_b32_e32 v6, v3
	v_mov_b32_e32 v2, 0
	s_waitcnt lgkmcnt(0)
	v_cmp_lt_u64_e64 s0, s[10:11], 2
	s_and_b32 vcc_lo, exec_lo, s0
	s_cbranch_vccnz .LBB0_8
; %bb.1:
	s_load_dwordx2 s[0:1], s[4:5], 0x10
	v_mov_b32_e32 v1, 0
	s_add_u32 s6, s12, 8
	v_mov_b32_e32 v2, 0
	s_addc_u32 s7, s13, 0
	s_mov_b64 s[16:17], 1
	s_waitcnt lgkmcnt(0)
	s_add_u32 s14, s0, 8
	s_addc_u32 s15, s1, 0
.LBB0_2:                                ; =>This Inner Loop Header: Depth=1
	s_load_dwordx2 s[18:19], s[14:15], 0x0
                                        ; implicit-def: $vgpr7_vgpr8
	s_mov_b32 s0, exec_lo
	s_waitcnt lgkmcnt(0)
	v_or_b32_e32 v4, s19, v6
	v_cmpx_ne_u64_e32 0, v[3:4]
	s_xor_b32 s1, exec_lo, s0
	s_cbranch_execz .LBB0_4
; %bb.3:                                ;   in Loop: Header=BB0_2 Depth=1
	v_cvt_f32_u32_e32 v4, s18
	v_cvt_f32_u32_e32 v7, s19
	s_sub_u32 s0, 0, s18
	s_subb_u32 s20, 0, s19
	v_fmac_f32_e32 v4, 0x4f800000, v7
	v_rcp_f32_e32 v4, v4
	v_mul_f32_e32 v4, 0x5f7ffffc, v4
	v_mul_f32_e32 v7, 0x2f800000, v4
	v_trunc_f32_e32 v7, v7
	v_fmac_f32_e32 v4, 0xcf800000, v7
	v_cvt_u32_f32_e32 v7, v7
	v_cvt_u32_f32_e32 v4, v4
	v_mul_lo_u32 v8, s0, v7
	v_mul_hi_u32 v9, s0, v4
	v_mul_lo_u32 v10, s20, v4
	v_add_nc_u32_e32 v8, v9, v8
	v_mul_lo_u32 v9, s0, v4
	v_add_nc_u32_e32 v8, v8, v10
	v_mul_hi_u32 v10, v4, v9
	v_mul_lo_u32 v11, v4, v8
	v_mul_hi_u32 v12, v4, v8
	v_mul_hi_u32 v13, v7, v9
	v_mul_lo_u32 v9, v7, v9
	v_mul_hi_u32 v14, v7, v8
	v_mul_lo_u32 v8, v7, v8
	v_add_co_u32 v10, vcc_lo, v10, v11
	v_add_co_ci_u32_e32 v11, vcc_lo, 0, v12, vcc_lo
	v_add_co_u32 v9, vcc_lo, v10, v9
	v_add_co_ci_u32_e32 v9, vcc_lo, v11, v13, vcc_lo
	v_add_co_ci_u32_e32 v10, vcc_lo, 0, v14, vcc_lo
	v_add_co_u32 v8, vcc_lo, v9, v8
	v_add_co_ci_u32_e32 v9, vcc_lo, 0, v10, vcc_lo
	v_add_co_u32 v4, vcc_lo, v4, v8
	v_add_co_ci_u32_e32 v7, vcc_lo, v7, v9, vcc_lo
	v_mul_hi_u32 v8, s0, v4
	v_mul_lo_u32 v10, s20, v4
	v_mul_lo_u32 v9, s0, v7
	v_add_nc_u32_e32 v8, v8, v9
	v_mul_lo_u32 v9, s0, v4
	v_add_nc_u32_e32 v8, v8, v10
	v_mul_hi_u32 v10, v4, v9
	v_mul_lo_u32 v11, v4, v8
	v_mul_hi_u32 v12, v4, v8
	v_mul_hi_u32 v13, v7, v9
	v_mul_lo_u32 v9, v7, v9
	v_mul_hi_u32 v14, v7, v8
	v_mul_lo_u32 v8, v7, v8
	v_add_co_u32 v10, vcc_lo, v10, v11
	v_add_co_ci_u32_e32 v11, vcc_lo, 0, v12, vcc_lo
	v_add_co_u32 v9, vcc_lo, v10, v9
	v_add_co_ci_u32_e32 v9, vcc_lo, v11, v13, vcc_lo
	v_add_co_ci_u32_e32 v10, vcc_lo, 0, v14, vcc_lo
	v_add_co_u32 v8, vcc_lo, v9, v8
	v_add_co_ci_u32_e32 v9, vcc_lo, 0, v10, vcc_lo
	v_add_co_u32 v4, vcc_lo, v4, v8
	v_add_co_ci_u32_e32 v11, vcc_lo, v7, v9, vcc_lo
	v_mul_hi_u32 v13, v5, v4
	v_mad_u64_u32 v[9:10], null, v6, v4, 0
	v_mad_u64_u32 v[7:8], null, v5, v11, 0
	;; [unrolled: 1-line block ×3, first 2 shown]
	v_add_co_u32 v4, vcc_lo, v13, v7
	v_add_co_ci_u32_e32 v7, vcc_lo, 0, v8, vcc_lo
	v_add_co_u32 v4, vcc_lo, v4, v9
	v_add_co_ci_u32_e32 v4, vcc_lo, v7, v10, vcc_lo
	v_add_co_ci_u32_e32 v7, vcc_lo, 0, v12, vcc_lo
	v_add_co_u32 v4, vcc_lo, v4, v11
	v_add_co_ci_u32_e32 v9, vcc_lo, 0, v7, vcc_lo
	v_mul_lo_u32 v10, s19, v4
	v_mad_u64_u32 v[7:8], null, s18, v4, 0
	v_mul_lo_u32 v11, s18, v9
	v_sub_co_u32 v7, vcc_lo, v5, v7
	v_add3_u32 v8, v8, v11, v10
	v_sub_nc_u32_e32 v10, v6, v8
	v_subrev_co_ci_u32_e64 v10, s0, s19, v10, vcc_lo
	v_add_co_u32 v11, s0, v4, 2
	v_add_co_ci_u32_e64 v12, s0, 0, v9, s0
	v_sub_co_u32 v13, s0, v7, s18
	v_sub_co_ci_u32_e32 v8, vcc_lo, v6, v8, vcc_lo
	v_subrev_co_ci_u32_e64 v10, s0, 0, v10, s0
	v_cmp_le_u32_e32 vcc_lo, s18, v13
	v_cmp_eq_u32_e64 s0, s19, v8
	v_cndmask_b32_e64 v13, 0, -1, vcc_lo
	v_cmp_le_u32_e32 vcc_lo, s19, v10
	v_cndmask_b32_e64 v14, 0, -1, vcc_lo
	v_cmp_le_u32_e32 vcc_lo, s18, v7
	;; [unrolled: 2-line block ×3, first 2 shown]
	v_cndmask_b32_e64 v15, 0, -1, vcc_lo
	v_cmp_eq_u32_e32 vcc_lo, s19, v10
	v_cndmask_b32_e64 v7, v15, v7, s0
	v_cndmask_b32_e32 v10, v14, v13, vcc_lo
	v_add_co_u32 v13, vcc_lo, v4, 1
	v_add_co_ci_u32_e32 v14, vcc_lo, 0, v9, vcc_lo
	v_cmp_ne_u32_e32 vcc_lo, 0, v10
	v_cndmask_b32_e32 v8, v14, v12, vcc_lo
	v_cndmask_b32_e32 v10, v13, v11, vcc_lo
	v_cmp_ne_u32_e32 vcc_lo, 0, v7
	v_cndmask_b32_e32 v8, v9, v8, vcc_lo
	v_cndmask_b32_e32 v7, v4, v10, vcc_lo
.LBB0_4:                                ;   in Loop: Header=BB0_2 Depth=1
	s_andn2_saveexec_b32 s0, s1
	s_cbranch_execz .LBB0_6
; %bb.5:                                ;   in Loop: Header=BB0_2 Depth=1
	v_cvt_f32_u32_e32 v4, s18
	s_sub_i32 s1, 0, s18
	v_rcp_iflag_f32_e32 v4, v4
	v_mul_f32_e32 v4, 0x4f7ffffe, v4
	v_cvt_u32_f32_e32 v4, v4
	v_mul_lo_u32 v7, s1, v4
	v_mul_hi_u32 v7, v4, v7
	v_add_nc_u32_e32 v4, v4, v7
	v_mul_hi_u32 v4, v5, v4
	v_mul_lo_u32 v7, v4, s18
	v_add_nc_u32_e32 v8, 1, v4
	v_sub_nc_u32_e32 v7, v5, v7
	v_subrev_nc_u32_e32 v9, s18, v7
	v_cmp_le_u32_e32 vcc_lo, s18, v7
	v_cndmask_b32_e32 v7, v7, v9, vcc_lo
	v_cndmask_b32_e32 v4, v4, v8, vcc_lo
	v_cmp_le_u32_e32 vcc_lo, s18, v7
	v_add_nc_u32_e32 v8, 1, v4
	v_cndmask_b32_e32 v7, v4, v8, vcc_lo
	v_mov_b32_e32 v8, v3
.LBB0_6:                                ;   in Loop: Header=BB0_2 Depth=1
	s_or_b32 exec_lo, exec_lo, s0
	s_load_dwordx2 s[0:1], s[6:7], 0x0
	v_mul_lo_u32 v4, v8, s18
	v_mul_lo_u32 v11, v7, s19
	v_mad_u64_u32 v[9:10], null, v7, s18, 0
	s_add_u32 s16, s16, 1
	s_addc_u32 s17, s17, 0
	s_add_u32 s6, s6, 8
	s_addc_u32 s7, s7, 0
	;; [unrolled: 2-line block ×3, first 2 shown]
	v_add3_u32 v4, v10, v11, v4
	v_sub_co_u32 v5, vcc_lo, v5, v9
	v_sub_co_ci_u32_e32 v4, vcc_lo, v6, v4, vcc_lo
	s_waitcnt lgkmcnt(0)
	v_mul_lo_u32 v6, s1, v5
	v_mul_lo_u32 v4, s0, v4
	v_mad_u64_u32 v[1:2], null, s0, v5, v[1:2]
	v_cmp_ge_u64_e64 s0, s[16:17], s[10:11]
	s_and_b32 vcc_lo, exec_lo, s0
	v_add3_u32 v2, v6, v2, v4
	s_cbranch_vccnz .LBB0_9
; %bb.7:                                ;   in Loop: Header=BB0_2 Depth=1
	v_mov_b32_e32 v5, v7
	v_mov_b32_e32 v6, v8
	s_branch .LBB0_2
.LBB0_8:
	v_mov_b32_e32 v8, v6
	v_mov_b32_e32 v7, v5
.LBB0_9:
	s_lshl_b64 s[0:1], s[10:11], 3
	v_mul_hi_u32 v5, 0x10624de, v0
	s_add_u32 s0, s12, s0
	s_addc_u32 s1, s13, s1
	s_load_dwordx2 s[0:1], s[0:1], 0x0
	s_load_dwordx2 s[4:5], s[4:5], 0x20
	s_waitcnt lgkmcnt(0)
	v_mul_lo_u32 v3, s0, v8
	v_mul_lo_u32 v4, s1, v7
	v_mad_u64_u32 v[1:2], null, s0, v7, v[1:2]
	v_cmp_gt_u64_e32 vcc_lo, s[4:5], v[7:8]
	v_add3_u32 v2, v4, v2, v3
	v_mul_u32_u24_e32 v4, 0xfa, v5
	v_lshlrev_b64 v[2:3], 3, v[1:2]
	v_sub_nc_u32_e32 v0, v0, v4
	s_and_saveexec_b32 s1, vcc_lo
	s_cbranch_execz .LBB0_13
; %bb.10:
	v_mov_b32_e32 v1, 0
	v_add_co_u32 v4, s0, s2, v2
	v_add_co_ci_u32_e64 v5, s0, s3, v3, s0
	v_lshlrev_b64 v[6:7], 3, v[0:1]
	v_lshl_add_u32 v26, v0, 3, 0
	s_mov_b32 s4, exec_lo
	v_add_nc_u32_e32 v27, 0xf80, v26
	v_add_co_u32 v6, s0, v4, v6
	v_add_co_ci_u32_e64 v7, s0, v5, v7, s0
	v_add_nc_u32_e32 v28, 0x1f40, v26
	v_add_co_u32 v8, s0, 0x800, v6
	v_add_co_ci_u32_e64 v9, s0, 0, v7, s0
	v_add_co_u32 v10, s0, 0x1000, v6
	v_add_co_ci_u32_e64 v11, s0, 0, v7, s0
	;; [unrolled: 2-line block ×7, first 2 shown]
	s_clause 0x3
	global_load_dwordx2 v[12:13], v[6:7], off
	global_load_dwordx2 v[14:15], v[6:7], off offset:2000
	global_load_dwordx2 v[8:9], v[8:9], off offset:1952
	;; [unrolled: 1-line block ×3, first 2 shown]
	v_add_co_u32 v6, s0, 0x4000, v6
	v_add_co_ci_u32_e64 v7, s0, 0, v7, s0
	s_clause 0x5
	global_load_dwordx2 v[16:17], v[16:17], off offset:1856
	global_load_dwordx2 v[18:19], v[18:19], off offset:1808
	;; [unrolled: 1-line block ×6, first 2 shown]
	v_add_nc_u32_e32 v29, 0x2ec0, v26
	v_add_nc_u32_e32 v30, 0x3e80, v26
	s_waitcnt vmcnt(8)
	ds_write2_b64 v26, v[12:13], v[14:15] offset1:250
	s_waitcnt vmcnt(6)
	ds_write2_b64 v27, v[8:9], v[10:11] offset0:4 offset1:254
	s_waitcnt vmcnt(4)
	ds_write2_b64 v28, v[16:17], v[18:19] offset1:250
	s_waitcnt vmcnt(2)
	ds_write2_b64 v29, v[20:21], v[22:23] offset0:4 offset1:254
	s_waitcnt vmcnt(0)
	ds_write2_b64 v30, v[24:25], v[6:7] offset1:250
	v_cmpx_eq_u32_e32 0xf9, v0
	s_cbranch_execz .LBB0_12
; %bb.11:
	v_add_co_u32 v4, s0, 0x4800, v4
	v_add_co_ci_u32_e64 v5, s0, 0, v5, s0
	v_mov_b32_e32 v0, 0xf9
	global_load_dwordx2 v[4:5], v[4:5], off offset:1568
	s_waitcnt vmcnt(0)
	ds_write_b64 v1, v[4:5] offset:20000
.LBB0_12:
	s_or_b32 exec_lo, exec_lo, s4
.LBB0_13:
	s_or_b32 exec_lo, exec_lo, s1
	v_lshlrev_b32_e32 v1, 3, v0
	s_waitcnt lgkmcnt(0)
	s_barrier
	buffer_gl0_inv
	s_add_u32 s1, s8, 0x4dd0
	v_add_nc_u32_e32 v8, 0, v1
	v_sub_nc_u32_e32 v11, 0, v1
	s_addc_u32 s4, s9, 0
	s_mov_b32 s5, exec_lo
                                        ; implicit-def: $vgpr6_vgpr7
	ds_read_b32 v9, v8
	ds_read_b32 v10, v11 offset:20000
	s_waitcnt lgkmcnt(0)
	v_add_f32_e32 v4, v10, v9
	v_sub_f32_e32 v5, v9, v10
	v_cmpx_ne_u32_e32 0, v0
	s_xor_b32 s5, exec_lo, s5
	s_cbranch_execz .LBB0_15
; %bb.14:
	v_mov_b32_e32 v1, 0
	v_add_f32_e32 v12, v10, v9
	v_sub_f32_e32 v13, v9, v10
	v_lshlrev_b64 v[4:5], 3, v[0:1]
	v_add_co_u32 v4, s0, s1, v4
	v_add_co_ci_u32_e64 v5, s0, s4, v5, s0
	global_load_dwordx2 v[6:7], v[4:5], off
	ds_read_b32 v4, v11 offset:20004
	ds_read_b32 v5, v8 offset:4
	s_waitcnt lgkmcnt(0)
	v_add_f32_e32 v14, v4, v5
	v_sub_f32_e32 v4, v5, v4
	s_waitcnt vmcnt(0)
	v_fma_f32 v9, -v13, v7, v12
	v_fma_f32 v10, v14, v7, -v4
	v_fma_f32 v15, v13, v7, v12
	v_fma_f32 v5, v14, v7, v4
	v_fmac_f32_e32 v9, v6, v14
	v_fmac_f32_e32 v10, v13, v6
	v_fma_f32 v4, -v6, v14, v15
	v_fmac_f32_e32 v5, v13, v6
	v_mov_b32_e32 v7, v1
	v_mov_b32_e32 v6, v0
	ds_write_b64 v11, v[9:10] offset:20000
.LBB0_15:
	s_andn2_saveexec_b32 s0, s5
	s_cbranch_execz .LBB0_17
; %bb.16:
	v_mov_b32_e32 v1, 0
	ds_read_b64 v[6:7], v1 offset:10000
	s_waitcnt lgkmcnt(0)
	v_add_f32_e32 v9, v6, v6
	v_mul_f32_e32 v10, -2.0, v7
	v_mov_b32_e32 v6, 0
	v_mov_b32_e32 v7, 0
	ds_write_b64 v1, v[9:10] offset:10000
.LBB0_17:
	s_or_b32 exec_lo, exec_lo, s0
	v_lshlrev_b64 v[6:7], 3, v[6:7]
	ds_write_b64 v8, v[4:5]
	v_and_b32_e32 v31, 0xff, v0
	v_mad_u32_u24 v33, 0x48, v0, v8
	v_add_co_u32 v6, s0, s1, v6
	v_add_co_ci_u32_e64 v7, s0, s4, v7, s0
	v_add_co_u32 v12, s0, 0x800, v6
	global_load_dwordx2 v[9:10], v[6:7], off offset:2000
	v_add_co_ci_u32_e64 v13, s0, 0, v7, s0
	v_add_co_u32 v14, s0, 0x1000, v6
	v_add_co_ci_u32_e64 v15, s0, 0, v7, s0
	s_clause 0x1
	global_load_dwordx2 v[12:13], v[12:13], off offset:1952
	global_load_dwordx2 v[14:15], v[14:15], off offset:1904
	v_add_co_u32 v6, s0, 0x1800, v6
	v_add_co_ci_u32_e64 v7, s0, 0, v7, s0
	global_load_dwordx2 v[16:17], v[6:7], off offset:1856
	ds_read_b64 v[4:5], v8 offset:2000
	ds_read_b64 v[6:7], v11 offset:18000
	s_waitcnt lgkmcnt(0)
	v_add_f32_e32 v1, v4, v6
	v_add_f32_e32 v18, v7, v5
	v_sub_f32_e32 v19, v4, v6
	v_sub_f32_e32 v4, v5, v7
	s_waitcnt vmcnt(3)
	v_fma_f32 v20, v19, v10, v1
	v_fma_f32 v5, v18, v10, v4
	v_fma_f32 v6, -v19, v10, v1
	v_fma_f32 v7, v18, v10, -v4
	v_fma_f32 v4, -v9, v18, v20
	v_fmac_f32_e32 v5, v19, v9
	v_fmac_f32_e32 v6, v9, v18
	v_fmac_f32_e32 v7, v19, v9
	ds_write_b64 v8, v[4:5] offset:2000
	ds_write_b64 v11, v[6:7] offset:18000
	ds_read_b64 v[4:5], v8 offset:4000
	ds_read_b64 v[6:7], v11 offset:16000
	s_waitcnt lgkmcnt(0)
	v_add_f32_e32 v1, v4, v6
	v_add_f32_e32 v9, v7, v5
	v_sub_f32_e32 v10, v4, v6
	v_sub_f32_e32 v4, v5, v7
	s_waitcnt vmcnt(2)
	v_fma_f32 v18, v10, v13, v1
	v_fma_f32 v5, v9, v13, v4
	v_fma_f32 v6, -v10, v13, v1
	v_fma_f32 v7, v9, v13, -v4
	v_fma_f32 v4, -v12, v9, v18
	v_fmac_f32_e32 v5, v10, v12
	v_fmac_f32_e32 v6, v12, v9
	;; [unrolled: 1-line block ×3, first 2 shown]
	ds_write_b64 v8, v[4:5] offset:4000
	ds_write_b64 v11, v[6:7] offset:16000
	ds_read_b64 v[4:5], v8 offset:6000
	ds_read_b64 v[6:7], v11 offset:14000
	v_mov_b32_e32 v18, 0xcccd
	s_waitcnt lgkmcnt(0)
	v_add_f32_e32 v1, v4, v6
	v_add_f32_e32 v9, v7, v5
	v_sub_f32_e32 v10, v4, v6
	v_sub_f32_e32 v4, v5, v7
	s_waitcnt vmcnt(1)
	v_fma_f32 v12, v10, v15, v1
	v_fma_f32 v5, v9, v15, v4
	v_fma_f32 v6, -v10, v15, v1
	v_fma_f32 v7, v9, v15, -v4
	v_add_nc_u32_e32 v1, 0xf80, v8
	v_fma_f32 v4, -v14, v9, v12
	v_fmac_f32_e32 v5, v10, v14
	v_fmac_f32_e32 v6, v14, v9
	;; [unrolled: 1-line block ×3, first 2 shown]
	ds_write_b64 v8, v[4:5] offset:6000
	ds_write_b64 v11, v[6:7] offset:14000
	ds_read_b64 v[4:5], v8 offset:8000
	ds_read_b64 v[12:13], v11 offset:12000
	v_add_nc_u32_e32 v10, 0xfa, v0
	v_add_nc_u32_e32 v6, 0x1f40, v8
	;; [unrolled: 1-line block ×3, first 2 shown]
	v_mul_u32_u24_sdwa v32, v10, v18 dst_sel:DWORD dst_unused:UNUSED_PAD src0_sel:WORD_0 src1_sel:DWORD
	v_lshrrev_b32_e32 v46, 19, v32
	v_mov_b32_e32 v32, 5
	s_waitcnt lgkmcnt(0)
	v_add_f32_e32 v9, v4, v12
	v_add_f32_e32 v14, v13, v5
	v_sub_f32_e32 v15, v4, v12
	v_sub_f32_e32 v4, v5, v13
	s_waitcnt vmcnt(0)
	v_fma_f32 v19, v15, v17, v9
	v_fma_f32 v5, v14, v17, v4
	v_fma_f32 v12, -v15, v17, v9
	v_fma_f32 v13, v14, v17, -v4
	v_mul_lo_u16 v17, 0xcd, v31
	v_fma_f32 v4, -v16, v14, v19
	v_fmac_f32_e32 v5, v15, v16
	v_fmac_f32_e32 v12, v16, v14
	;; [unrolled: 1-line block ×3, first 2 shown]
	v_add_nc_u32_e32 v9, 0x3e80, v8
	v_lshrrev_b16 v38, 11, v17
	ds_write_b64 v8, v[4:5] offset:8000
	ds_write_b64 v11, v[12:13] offset:12000
	s_waitcnt lgkmcnt(0)
	s_barrier
	buffer_gl0_inv
	s_barrier
	buffer_gl0_inv
	ds_read2_b64 v[11:14], v8 offset1:250
	ds_read2_b64 v[15:18], v1 offset0:4 offset1:254
	ds_read2_b64 v[19:22], v6 offset1:250
	ds_read2_b64 v[23:26], v7 offset0:4 offset1:254
	ds_read2_b64 v[27:30], v9 offset1:250
	v_mul_lo_u16 v4, v38, 10
	v_mul_lo_u16 v5, v46, 10
	s_waitcnt lgkmcnt(0)
	s_barrier
	buffer_gl0_inv
	v_sub_nc_u16 v47, v0, v4
	v_sub_nc_u16 v48, v10, v5
	v_lshlrev_b32_sdwa v34, v32, v47 dst_sel:DWORD dst_unused:UNUSED_PAD src0_sel:DWORD src1_sel:BYTE_0
	v_add_f32_e32 v4, v11, v15
	v_sub_f32_e32 v37, v15, v19
	v_add_f32_e32 v42, v12, v16
	v_sub_f32_e32 v39, v27, v23
	v_add_f32_e32 v50, v13, v17
	v_add_f32_e32 v55, v14, v18
	;; [unrolled: 1-line block ×4, first 2 shown]
	v_sub_f32_e32 v53, v17, v21
	v_add_f32_e32 v56, v22, v26
	v_add_f32_e32 v37, v37, v39
	v_sub_f32_e32 v39, v29, v25
	v_sub_f32_e32 v35, v16, v28
	;; [unrolled: 1-line block ×4, first 2 shown]
	v_add_f32_e32 v43, v20, v24
	v_sub_f32_e32 v44, v19, v23
	v_sub_f32_e32 v45, v16, v20
	v_add_f32_e32 v49, v16, v28
	v_sub_f32_e32 v16, v20, v16
	v_sub_f32_e32 v52, v22, v26
	v_sub_f32_e32 v54, v21, v17
	v_sub_f32_e32 v57, v21, v25
	v_sub_f32_e32 v58, v18, v22
	v_add_f32_e32 v4, v4, v19
	v_add_f32_e32 v19, v42, v20
	;; [unrolled: 1-line block ×4, first 2 shown]
	v_sub_f32_e32 v22, v22, v18
	v_sub_f32_e32 v42, v18, v30
	v_add_f32_e32 v18, v18, v30
	v_sub_f32_e32 v55, v23, v27
	v_add_f32_e32 v50, v17, v29
	v_sub_f32_e32 v17, v17, v29
	v_sub_f32_e32 v59, v28, v24
	v_fma_f32 v61, -0.5, v5, v11
	v_fma_f32 v51, -0.5, v51, v13
	v_add_f32_e32 v5, v53, v39
	v_fma_f32 v39, -0.5, v56, v14
	v_add_f32_e32 v40, v15, v27
	v_sub_f32_e32 v60, v24, v28
	v_add_f32_e32 v41, v41, v55
	v_sub_f32_e32 v55, v25, v29
	v_fmac_f32_e32 v14, -0.5, v18
	v_add_f32_e32 v45, v45, v59
	v_sub_f32_e32 v59, v30, v26
	v_add_f32_e32 v20, v20, v25
	v_fmamk_f32 v25, v42, 0xbf737871, v51
	v_fmamk_f32 v53, v17, 0x3f737871, v39
	v_add_f32_e32 v16, v16, v60
	v_sub_f32_e32 v60, v26, v30
	v_fma_f32 v40, -0.5, v40, v11
	v_fma_f32 v49, -0.5, v49, v12
	;; [unrolled: 1-line block ×3, first 2 shown]
	v_add_f32_e32 v11, v54, v55
	v_fmamk_f32 v54, v57, 0xbf737871, v14
	v_fmac_f32_e32 v14, 0x3f737871, v57
	v_fmac_f32_e32 v39, 0xbf737871, v17
	v_sub_f32_e32 v15, v15, v27
	v_fma_f32 v43, -0.5, v43, v12
	v_add_f32_e32 v12, v58, v59
	v_fmac_f32_e32 v25, 0xbf167918, v52
	v_fmac_f32_e32 v53, 0x3f167918, v57
	v_add_f32_e32 v18, v22, v60
	v_add_f32_e32 v4, v4, v23
	v_fmamk_f32 v50, v44, 0xbf737871, v49
	v_fmac_f32_e32 v49, 0x3f737871, v44
	v_add_f32_e32 v21, v21, v26
	v_fmamk_f32 v26, v52, 0x3f737871, v13
	v_fmac_f32_e32 v13, 0xbf737871, v52
	v_fmac_f32_e32 v54, 0x3f167918, v17
	;; [unrolled: 1-line block ×3, first 2 shown]
	v_fmamk_f32 v22, v35, 0xbf737871, v61
	v_fmac_f32_e32 v61, 0x3f737871, v35
	v_fmac_f32_e32 v51, 0x3f737871, v42
	;; [unrolled: 1-line block ×3, first 2 shown]
	v_add_f32_e32 v19, v19, v24
	v_fmamk_f32 v24, v15, 0x3f737871, v43
	v_fmac_f32_e32 v25, 0x3e9e377a, v5
	v_fmac_f32_e32 v53, 0x3e9e377a, v12
	v_fmamk_f32 v23, v36, 0x3f737871, v40
	v_fmac_f32_e32 v40, 0xbf737871, v36
	v_fmac_f32_e32 v43, 0xbf737871, v15
	v_add_f32_e32 v27, v4, v27
	v_fmac_f32_e32 v50, 0x3f167918, v15
	v_fmac_f32_e32 v49, 0xbf167918, v15
	v_add_f32_e32 v15, v20, v29
	v_fmac_f32_e32 v26, 0xbf167918, v42
	v_fmac_f32_e32 v13, 0x3f167918, v42
	;; [unrolled: 1-line block ×9, first 2 shown]
	v_add_f32_e32 v20, v21, v30
	v_mul_f32_e32 v21, 0xbf167918, v53
	v_mul_f32_e32 v30, 0x3f167918, v25
	v_fmac_f32_e32 v23, 0xbf167918, v35
	v_fmac_f32_e32 v40, 0x3f167918, v35
	v_add_f32_e32 v19, v19, v28
	v_fmac_f32_e32 v26, 0x3e9e377a, v11
	v_fmac_f32_e32 v13, 0x3e9e377a, v11
	v_add_f32_e32 v4, v27, v15
	v_sub_f32_e32 v11, v27, v15
	v_mul_f32_e32 v27, 0xbf737871, v54
	v_mul_f32_e32 v28, 0xbf737871, v14
	;; [unrolled: 1-line block ×4, first 2 shown]
	v_fmac_f32_e32 v43, 0xbf167918, v44
	v_fmac_f32_e32 v22, 0x3e9e377a, v37
	;; [unrolled: 1-line block ×4, first 2 shown]
	v_mul_f32_e32 v29, 0xbf167918, v39
	v_mul_f32_e32 v37, 0xbf4f1bbd, v39
	v_fmac_f32_e32 v24, 0x3e9e377a, v45
	v_fmac_f32_e32 v21, 0x3f4f1bbd, v25
	;; [unrolled: 1-line block ×14, first 2 shown]
	v_add_f32_e32 v5, v19, v20
	v_add_f32_e32 v13, v22, v21
	;; [unrolled: 1-line block ×7, first 2 shown]
	v_sub_f32_e32 v12, v19, v20
	v_add_f32_e32 v19, v61, v29
	v_add_f32_e32 v20, v43, v37
	v_sub_f32_e32 v21, v22, v21
	v_sub_f32_e32 v23, v23, v27
	;; [unrolled: 1-line block ×8, first 2 shown]
	ds_write2_b64 v33, v[4:5], v[13:14] offset1:1
	ds_write2_b64 v33, v[15:16], v[17:18] offset0:2 offset1:3
	ds_write2_b64 v33, v[19:20], v[11:12] offset0:4 offset1:5
	;; [unrolled: 1-line block ×4, first 2 shown]
	v_lshlrev_b32_sdwa v4, v32, v48 dst_sel:DWORD dst_unused:UNUSED_PAD src0_sel:DWORD src1_sel:WORD_0
	s_waitcnt lgkmcnt(0)
	s_barrier
	buffer_gl0_inv
	s_clause 0x3
	global_load_dwordx4 v[14:17], v34, s[8:9]
	global_load_dwordx4 v[18:21], v34, s[8:9] offset:16
	global_load_dwordx4 v[22:25], v4, s[8:9]
	global_load_dwordx4 v[26:29], v4, s[8:9] offset:16
	v_mul_lo_u16 v4, v31, 41
	ds_read2_b64 v[30:33], v1 offset0:4 offset1:254
	ds_read2_b64 v[34:37], v6 offset1:250
	v_mov_b32_e32 v11, 3
	v_mov_b32_e32 v49, 9
	v_lshrrev_b16 v12, 11, v4
	v_mov_b32_e32 v4, 0x190
	ds_read2_b64 v[42:45], v9 offset1:250
	v_mul_lo_u16 v5, v12, 50
	v_mul_u32_u24_sdwa v4, v38, v4 dst_sel:DWORD dst_unused:UNUSED_PAD src0_sel:WORD_0 src1_sel:DWORD
	ds_read2_b64 v[38:41], v7 offset0:4 offset1:254
	v_sub_nc_u16 v13, v0, v5
	v_mul_u32_u24_e32 v5, 0x190, v46
	v_lshlrev_b32_sdwa v46, v11, v47 dst_sel:DWORD dst_unused:UNUSED_PAD src0_sel:DWORD src1_sel:BYTE_0
	v_lshlrev_b32_sdwa v47, v11, v48 dst_sel:DWORD dst_unused:UNUSED_PAD src0_sel:DWORD src1_sel:WORD_0
	v_mul_u32_u24_sdwa v48, v13, v49 dst_sel:DWORD dst_unused:UNUSED_PAD src0_sel:BYTE_0 src1_sel:DWORD
	v_lshlrev_b32_sdwa v11, v11, v13 dst_sel:DWORD dst_unused:UNUSED_PAD src0_sel:DWORD src1_sel:BYTE_0
	v_add3_u32 v50, 0, v4, v46
	v_add3_u32 v51, 0, v5, v47
	v_lshlrev_b32_e32 v52, 3, v48
	ds_read2_b64 v[46:49], v8 offset1:250
	s_waitcnt vmcnt(0) lgkmcnt(0)
	s_barrier
	buffer_gl0_inv
	v_mul_f32_e32 v53, v19, v39
	v_mul_f32_e32 v4, v15, v31
	;; [unrolled: 1-line block ×10, first 2 shown]
	v_fmac_f32_e32 v4, v14, v30
	v_fma_f32 v5, v14, v31, -v5
	v_fmac_f32_e32 v15, v16, v34
	v_fma_f32 v14, v16, v35, -v17
	v_mul_f32_e32 v16, v37, v25
	v_mul_f32_e32 v17, v36, v25
	;; [unrolled: 1-line block ×4, first 2 shown]
	v_fmac_f32_e32 v53, v18, v38
	v_fma_f32 v19, v18, v39, -v19
	v_fmac_f32_e32 v54, v20, v42
	v_mul_f32_e32 v31, v45, v29
	v_mul_f32_e32 v18, v44, v29
	v_fma_f32 v30, v20, v43, -v21
	v_fmac_f32_e32 v55, v22, v32
	v_fma_f32 v20, v22, v33, -v23
	v_fmac_f32_e32 v16, v36, v24
	;; [unrolled: 2-line block ×4, first 2 shown]
	v_fma_f32 v29, v45, v28, -v18
	v_sub_f32_e32 v22, v4, v15
	v_sub_f32_e32 v24, v54, v53
	v_add_f32_e32 v26, v4, v54
	v_add_f32_e32 v34, v47, v5
	;; [unrolled: 1-line block ×6, first 2 shown]
	v_sub_f32_e32 v32, v15, v4
	v_sub_f32_e32 v33, v53, v54
	;; [unrolled: 1-line block ×6, first 2 shown]
	v_add_f32_e32 v43, v48, v55
	v_add_f32_e32 v44, v16, v25
	;; [unrolled: 1-line block ×4, first 2 shown]
	v_sub_f32_e32 v28, v14, v19
	v_add_f32_e32 v59, v55, v31
	v_add_f32_e32 v64, v22, v24
	;; [unrolled: 1-line block ×3, first 2 shown]
	v_fma_f32 v14, -0.5, v26, v46
	v_add_f32_e32 v26, v20, v29
	v_sub_f32_e32 v27, v5, v30
	v_sub_f32_e32 v36, v4, v54
	v_add_f32_e32 v18, v18, v15
	v_fma_f32 v4, -0.5, v21, v46
	v_fma_f32 v5, -0.5, v35, v47
	v_sub_f32_e32 v37, v15, v53
	v_sub_f32_e32 v45, v20, v29
	;; [unrolled: 1-line block ×4, first 2 shown]
	v_fma_f32 v15, -0.5, v40, v47
	v_sub_f32_e32 v20, v17, v20
	v_sub_f32_e32 v35, v23, v29
	;; [unrolled: 1-line block ×7, first 2 shown]
	v_add_f32_e32 v32, v32, v33
	v_add_f32_e32 v33, v38, v39
	v_add_f32_e32 v34, v41, v42
	v_add_f32_e32 v38, v43, v16
	v_fma_f32 v16, -0.5, v44, v48
	v_add_f32_e32 v41, v62, v17
	v_fma_f32 v17, -0.5, v63, v49
	v_fma_f32 v48, -0.5, v59, v48
	v_fmac_f32_e32 v49, -0.5, v26
	v_add_f32_e32 v26, v18, v53
	v_fmamk_f32 v18, v27, 0xbf737871, v4
	v_add_f32_e32 v43, v24, v19
	v_fmamk_f32 v19, v36, 0x3f737871, v5
	v_add_f32_e32 v42, v22, v21
	v_add_f32_e32 v35, v20, v35
	v_fmamk_f32 v20, v28, 0x3f737871, v14
	v_fmac_f32_e32 v14, 0xbf737871, v28
	v_fmamk_f32 v21, v37, 0xbf737871, v15
	v_fmac_f32_e32 v15, 0x3f737871, v37
	v_fmac_f32_e32 v4, 0x3f737871, v27
	;; [unrolled: 1-line block ×3, first 2 shown]
	v_sub_f32_e32 v58, v31, v25
	v_fmamk_f32 v22, v45, 0xbf737871, v16
	v_add_f32_e32 v41, v41, v23
	v_fmamk_f32 v23, v55, 0x3f737871, v17
	v_sub_f32_e32 v61, v25, v31
	v_add_f32_e32 v38, v38, v25
	v_fmac_f32_e32 v16, 0x3f737871, v45
	v_fmamk_f32 v24, v56, 0x3f737871, v48
	v_fmac_f32_e32 v48, 0xbf737871, v56
	v_fmac_f32_e32 v17, 0xbf737871, v55
	v_fmamk_f32 v25, v65, 0xbf737871, v49
	v_fmac_f32_e32 v49, 0x3f737871, v65
	v_fmac_f32_e32 v18, 0xbf167918, v28
	;; [unrolled: 1-line block ×9, first 2 shown]
	v_add_f32_e32 v39, v57, v58
	v_fmac_f32_e32 v22, 0xbf167918, v56
	v_fmac_f32_e32 v23, 0x3f167918, v65
	v_add_f32_e32 v40, v60, v61
	v_fmac_f32_e32 v16, 0x3f167918, v56
	v_fmac_f32_e32 v24, 0xbf167918, v45
	;; [unrolled: 1-line block ×6, first 2 shown]
	v_add_f32_e32 v26, v26, v54
	v_add_f32_e32 v27, v43, v30
	v_fmac_f32_e32 v18, 0x3e9e377a, v64
	v_fmac_f32_e32 v19, 0x3e9e377a, v33
	;; [unrolled: 1-line block ×8, first 2 shown]
	v_add_f32_e32 v28, v38, v31
	v_add_f32_e32 v29, v41, v29
	v_fmac_f32_e32 v22, 0x3e9e377a, v39
	v_fmac_f32_e32 v23, 0x3e9e377a, v42
	;; [unrolled: 1-line block ×8, first 2 shown]
	ds_write2_b64 v50, v[26:27], v[18:19] offset1:10
	ds_write2_b64 v50, v[20:21], v[14:15] offset0:20 offset1:30
	ds_write_b64 v50, v[4:5] offset:320
	ds_write2_b64 v51, v[28:29], v[22:23] offset1:10
	ds_write2_b64 v51, v[24:25], v[48:49] offset0:20 offset1:30
	ds_write_b64 v51, v[16:17] offset:320
	s_waitcnt lgkmcnt(0)
	s_barrier
	buffer_gl0_inv
	s_clause 0x4
	global_load_dwordx4 v[14:17], v52, s[8:9] offset:320
	global_load_dwordx4 v[18:21], v52, s[8:9] offset:336
	;; [unrolled: 1-line block ×4, first 2 shown]
	global_load_dwordx2 v[46:47], v52, s[8:9] offset:384
	v_lshlrev_b32_e32 v4, 2, v0
	v_mov_b32_e32 v5, 0
	ds_read2_b64 v[34:37], v1 offset0:4 offset1:254
	v_lshlrev_b64 v[30:31], 3, v[4:5]
	v_lshlrev_b32_e32 v4, 2, v10
	v_mov_b32_e32 v10, 0xfa0
	v_lshlrev_b64 v[38:39], 3, v[4:5]
	v_add_co_u32 v4, s0, s8, v30
	v_add_co_ci_u32_e64 v40, s0, s9, v31, s0
	v_mul_u32_u24_sdwa v10, v12, v10 dst_sel:DWORD dst_unused:UNUSED_PAD src0_sel:WORD_0 src1_sel:DWORD
	ds_read2_b64 v[30:33], v8 offset1:250
	v_add_co_u32 v48, s0, 0xf50, v4
	v_add_co_ci_u32_e64 v49, s0, 0, v40, s0
	v_add_co_u32 v50, s0, 0x800, v4
	v_add3_u32 v4, 0, v10, v11
	ds_read2_b64 v[10:13], v6 offset1:250
	v_add_co_ci_u32_e64 v51, s0, 0, v40, s0
	v_add_co_u32 v52, s0, s8, v38
	v_add_co_ci_u32_e64 v53, s0, s9, v39, s0
	ds_read2_b64 v[38:41], v7 offset0:4 offset1:254
	ds_read2_b64 v[42:45], v9 offset1:250
	v_add_nc_u32_e32 v54, 0x800, v4
	s_waitcnt vmcnt(0) lgkmcnt(0)
	s_barrier
	buffer_gl0_inv
	v_mul_f32_e32 v55, v15, v33
	v_mul_f32_e32 v15, v15, v32
	;; [unrolled: 1-line block ×5, first 2 shown]
	v_fmac_f32_e32 v55, v14, v32
	v_fma_f32 v14, v14, v33, -v15
	v_fmac_f32_e32 v56, v16, v34
	v_fma_f32 v15, v16, v35, -v17
	v_mul_f32_e32 v16, v19, v36
	v_mul_f32_e32 v17, v21, v11
	;; [unrolled: 1-line block ×4, first 2 shown]
	v_fmac_f32_e32 v57, v18, v36
	v_fma_f32 v16, v18, v37, -v16
	v_mul_f32_e32 v18, v23, v12
	v_mul_f32_e32 v23, v39, v25
	v_fmac_f32_e32 v17, v20, v10
	v_fma_f32 v10, v20, v11, -v19
	v_mul_f32_e32 v19, v43, v29
	v_mul_f32_e32 v25, v38, v25
	;; [unrolled: 1-line block ×4, first 2 shown]
	v_fmac_f32_e32 v23, v38, v24
	v_fmac_f32_e32 v19, v42, v28
	v_mul_f32_e32 v32, v41, v27
	v_fmac_f32_e32 v21, v22, v12
	v_fma_f32 v12, v22, v13, -v18
	v_mul_f32_e32 v13, v44, v47
	v_fma_f32 v18, v39, v24, -v25
	v_fma_f32 v20, v43, v28, -v20
	v_mul_f32_e32 v27, v45, v47
	v_fma_f32 v11, v41, v26, -v11
	v_add_f32_e32 v22, v30, v56
	v_sub_f32_e32 v28, v56, v17
	v_sub_f32_e32 v29, v19, v23
	v_fmac_f32_e32 v32, v40, v26
	v_fma_f32 v13, v45, v46, -v13
	v_sub_f32_e32 v25, v15, v20
	v_add_f32_e32 v36, v31, v15
	v_sub_f32_e32 v40, v15, v10
	v_add_f32_e32 v42, v15, v20
	v_sub_f32_e32 v15, v10, v15
	v_sub_f32_e32 v43, v18, v20
	v_fmac_f32_e32 v27, v44, v46
	v_add_f32_e32 v24, v17, v23
	v_add_f32_e32 v33, v56, v19
	v_sub_f32_e32 v34, v17, v56
	v_add_f32_e32 v37, v10, v18
	v_sub_f32_e32 v39, v17, v23
	v_add_f32_e32 v17, v22, v17
	v_add_f32_e32 v22, v14, v16
	v_add_f32_e32 v28, v28, v29
	v_add_f32_e32 v29, v12, v11
	v_sub_f32_e32 v35, v23, v19
	v_add_f32_e32 v44, v55, v57
	v_add_f32_e32 v15, v15, v43
	;; [unrolled: 1-line block ×3, first 2 shown]
	v_sub_f32_e32 v26, v10, v18
	v_sub_f32_e32 v38, v56, v19
	;; [unrolled: 1-line block ×3, first 2 shown]
	v_add_f32_e32 v45, v21, v32
	v_sub_f32_e32 v46, v16, v13
	v_sub_f32_e32 v47, v12, v11
	;; [unrolled: 1-line block ×3, first 2 shown]
	v_fma_f32 v58, -0.5, v24, v30
	v_fma_f32 v30, -0.5, v33, v30
	;; [unrolled: 1-line block ×4, first 2 shown]
	v_add_f32_e32 v37, v57, v27
	v_sub_f32_e32 v42, v21, v57
	v_sub_f32_e32 v57, v57, v27
	v_add_f32_e32 v10, v36, v10
	v_sub_f32_e32 v36, v16, v12
	v_sub_f32_e32 v16, v12, v16
	v_add_f32_e32 v12, v22, v12
	v_fma_f32 v22, -0.5, v29, v14
	v_add_f32_e32 v34, v34, v35
	v_sub_f32_e32 v35, v21, v32
	v_add_f32_e32 v21, v44, v21
	v_sub_f32_e32 v44, v11, v13
	v_fmac_f32_e32 v14, -0.5, v43
	v_add_f32_e32 v40, v40, v41
	v_sub_f32_e32 v41, v13, v11
	v_fma_f32 v45, -0.5, v45, v55
	v_fmamk_f32 v43, v57, 0x3f737871, v22
	v_fmac_f32_e32 v55, -0.5, v37
	v_add_f32_e32 v16, v16, v44
	v_fmamk_f32 v44, v35, 0xbf737871, v14
	v_fmac_f32_e32 v14, 0x3f737871, v35
	v_fmac_f32_e32 v22, 0xbf737871, v57
	v_sub_f32_e32 v24, v27, v32
	v_add_f32_e32 v29, v36, v41
	v_add_f32_e32 v10, v10, v18
	;; [unrolled: 1-line block ×3, first 2 shown]
	v_fmamk_f32 v21, v46, 0xbf737871, v45
	v_fmac_f32_e32 v45, 0x3f737871, v46
	v_fmac_f32_e32 v43, 0x3f167918, v35
	v_sub_f32_e32 v59, v32, v27
	v_fmamk_f32 v36, v26, 0x3f737871, v30
	v_fmac_f32_e32 v30, 0xbf737871, v26
	v_fmamk_f32 v32, v47, 0x3f737871, v55
	v_fmac_f32_e32 v55, 0xbf737871, v47
	v_fmac_f32_e32 v44, 0x3f167918, v57
	;; [unrolled: 1-line block ×4, first 2 shown]
	v_add_f32_e32 v24, v56, v24
	v_add_f32_e32 v17, v17, v23
	v_fmamk_f32 v23, v25, 0xbf737871, v58
	v_fmamk_f32 v41, v38, 0x3f737871, v33
	v_fmac_f32_e32 v21, 0xbf167918, v47
	v_fmac_f32_e32 v45, 0x3f167918, v47
	;; [unrolled: 1-line block ×3, first 2 shown]
	v_add_f32_e32 v37, v42, v59
	v_fmac_f32_e32 v58, 0x3f737871, v25
	v_fmamk_f32 v42, v39, 0xbf737871, v31
	v_fmac_f32_e32 v31, 0x3f737871, v39
	v_fmac_f32_e32 v36, 0xbf167918, v25
	;; [unrolled: 1-line block ×9, first 2 shown]
	v_add_f32_e32 v11, v12, v11
	v_fmac_f32_e32 v23, 0xbf167918, v26
	v_fmac_f32_e32 v41, 0x3f167918, v39
	;; [unrolled: 1-line block ×4, first 2 shown]
	v_mul_f32_e32 v24, 0xbf167918, v43
	v_mul_f32_e32 v29, 0x3f4f1bbd, v43
	v_fmac_f32_e32 v58, 0x3f167918, v26
	v_fmac_f32_e32 v42, 0x3f167918, v38
	;; [unrolled: 1-line block ×7, first 2 shown]
	v_mul_f32_e32 v25, 0xbf737871, v44
	v_mul_f32_e32 v26, 0xbf737871, v14
	;; [unrolled: 1-line block ×4, first 2 shown]
	v_fmac_f32_e32 v33, 0xbf167918, v39
	v_add_f32_e32 v18, v18, v27
	v_mul_f32_e32 v27, 0xbf167918, v22
	v_mul_f32_e32 v37, 0xbf4f1bbd, v22
	v_add_f32_e32 v12, v17, v19
	v_add_f32_e32 v17, v10, v20
	;; [unrolled: 1-line block ×3, first 2 shown]
	v_fmac_f32_e32 v23, 0x3e9e377a, v28
	v_fmac_f32_e32 v41, 0x3e9e377a, v40
	;; [unrolled: 1-line block ×14, first 2 shown]
	v_add_f32_e32 v10, v12, v18
	v_add_f32_e32 v11, v17, v13
	;; [unrolled: 1-line block ×4, first 2 shown]
	v_sub_f32_e32 v12, v12, v18
	v_sub_f32_e32 v13, v17, v13
	v_add_f32_e32 v16, v36, v25
	v_add_f32_e32 v18, v30, v26
	;; [unrolled: 1-line block ×6, first 2 shown]
	v_sub_f32_e32 v22, v23, v24
	v_sub_f32_e32 v24, v36, v25
	v_sub_f32_e32 v23, v41, v29
	v_sub_f32_e32 v25, v42, v34
	v_sub_f32_e32 v26, v30, v26
	v_sub_f32_e32 v28, v58, v27
	v_sub_f32_e32 v27, v31, v35
	v_sub_f32_e32 v29, v33, v37
	ds_write2_b64 v4, v[10:11], v[14:15] offset1:50
	ds_write2_b64 v4, v[16:17], v[18:19] offset0:100 offset1:150
	ds_write2_b64 v4, v[20:21], v[12:13] offset0:200 offset1:250
	;; [unrolled: 1-line block ×4, first 2 shown]
	v_add_co_u32 v18, s0, 0x800, v52
	v_add_co_ci_u32_e64 v19, s0, 0, v53, s0
	v_add_co_u32 v22, s0, 0xf50, v52
	s_waitcnt lgkmcnt(0)
	s_barrier
	buffer_gl0_inv
	s_clause 0x1
	global_load_dwordx4 v[10:13], v[50:51], off offset:1872
	global_load_dwordx4 v[14:17], v[48:49], off offset:16
	v_add_co_ci_u32_e64 v23, s0, 0, v53, s0
	s_clause 0x1
	global_load_dwordx4 v[18:21], v[18:19], off offset:1872
	global_load_dwordx4 v[22:25], v[22:23], off offset:16
	ds_read2_b64 v[26:29], v1 offset0:4 offset1:254
	ds_read2_b64 v[30:33], v6 offset1:250
	ds_read2_b64 v[34:37], v7 offset0:4 offset1:254
	ds_read2_b64 v[38:41], v9 offset1:250
	ds_read2_b64 v[42:45], v8 offset1:250
	s_waitcnt vmcnt(0) lgkmcnt(0)
	s_barrier
	buffer_gl0_inv
	v_mul_f32_e32 v4, v11, v27
	v_mul_f32_e32 v11, v11, v26
	v_mul_f32_e32 v46, v13, v31
	v_mul_f32_e32 v13, v13, v30
	v_mul_f32_e32 v47, v15, v35
	v_mul_f32_e32 v15, v15, v34
	v_mul_f32_e32 v48, v17, v39
	v_mul_f32_e32 v49, v19, v29
	v_mul_f32_e32 v19, v19, v28
	v_mul_f32_e32 v50, v33, v21
	v_mul_f32_e32 v21, v32, v21
	v_mul_f32_e32 v51, v37, v23
	v_mul_f32_e32 v23, v36, v23
	v_mul_f32_e32 v17, v17, v38
	v_mul_f32_e32 v52, v41, v25
	v_fmac_f32_e32 v4, v10, v26
	v_fma_f32 v10, v10, v27, -v11
	v_fmac_f32_e32 v46, v12, v30
	v_fma_f32 v11, v12, v31, -v13
	v_mul_f32_e32 v12, v40, v25
	v_fmac_f32_e32 v47, v14, v34
	v_fma_f32 v25, v14, v35, -v15
	v_fmac_f32_e32 v48, v16, v38
	v_fmac_f32_e32 v49, v18, v28
	v_fma_f32 v13, v18, v29, -v19
	v_fmac_f32_e32 v50, v32, v20
	v_fma_f32 v15, v33, v20, -v21
	;; [unrolled: 2-line block ×3, first 2 shown]
	v_fma_f32 v26, v16, v39, -v17
	v_fmac_f32_e32 v52, v40, v24
	v_fma_f32 v27, v41, v24, -v12
	v_add_f32_e32 v14, v46, v47
	v_sub_f32_e32 v16, v4, v46
	v_sub_f32_e32 v17, v48, v47
	;; [unrolled: 1-line block ×4, first 2 shown]
	v_add_f32_e32 v22, v43, v10
	v_add_f32_e32 v23, v11, v25
	;; [unrolled: 1-line block ×11, first 2 shown]
	v_sub_f32_e32 v28, v10, v26
	v_sub_f32_e32 v29, v11, v25
	v_sub_f32_e32 v4, v4, v48
	v_sub_f32_e32 v24, v10, v11
	v_sub_f32_e32 v33, v11, v10
	v_sub_f32_e32 v34, v25, v26
	v_sub_f32_e32 v37, v13, v27
	v_sub_f32_e32 v38, v15, v21
	v_sub_f32_e32 v39, v49, v50
	v_sub_f32_e32 v40, v52, v51
	v_sub_f32_e32 v53, v50, v49
	v_sub_f32_e32 v49, v49, v52
	v_sub_f32_e32 v58, v13, v15
	v_sub_f32_e32 v61, v15, v13
	v_add_f32_e32 v63, v16, v17
	v_fma_f32 v10, -0.5, v14, v42
	v_add_f32_e32 v64, v19, v20
	v_add_f32_e32 v17, v22, v11
	v_fma_f32 v11, -0.5, v23, v43
	v_add_f32_e32 v20, v35, v50
	v_fma_f32 v14, -0.5, v36, v44
	;; [unrolled: 2-line block ×3, first 2 shown]
	v_sub_f32_e32 v30, v46, v47
	v_sub_f32_e32 v57, v50, v51
	v_add_f32_e32 v46, v12, v46
	v_fma_f32 v12, -0.5, v18, v42
	v_fma_f32 v13, -0.5, v32, v43
	;; [unrolled: 1-line block ×3, first 2 shown]
	v_fmac_f32_e32 v45, -0.5, v60
	v_sub_f32_e32 v31, v26, v25
	v_sub_f32_e32 v59, v27, v21
	;; [unrolled: 1-line block ×3, first 2 shown]
	v_add_f32_e32 v32, v33, v34
	v_add_f32_e32 v33, v39, v40
	v_fmamk_f32 v16, v28, 0xbf737871, v10
	v_add_f32_e32 v25, v17, v25
	v_fmamk_f32 v17, v4, 0x3f737871, v11
	;; [unrolled: 2-line block ×4, first 2 shown]
	v_sub_f32_e32 v54, v51, v52
	v_fmamk_f32 v18, v29, 0x3f737871, v12
	v_fmamk_f32 v19, v30, 0xbf737871, v13
	;; [unrolled: 1-line block ×4, first 2 shown]
	v_fmac_f32_e32 v12, 0xbf737871, v29
	v_fmac_f32_e32 v13, 0x3f737871, v30
	;; [unrolled: 1-line block ×8, first 2 shown]
	v_add_f32_e32 v31, v24, v31
	v_add_f32_e32 v24, v46, v47
	;; [unrolled: 1-line block ×3, first 2 shown]
	v_fmac_f32_e32 v16, 0xbf167918, v29
	v_fmac_f32_e32 v17, 0x3f167918, v30
	v_fmac_f32_e32 v20, 0xbf167918, v38
	v_fmac_f32_e32 v21, 0x3f167918, v57
	v_add_f32_e32 v34, v53, v54
	v_add_f32_e32 v36, v61, v62
	v_fmac_f32_e32 v18, 0xbf167918, v28
	v_fmac_f32_e32 v19, 0x3f167918, v4
	;; [unrolled: 1-line block ×12, first 2 shown]
	v_add_f32_e32 v24, v24, v48
	v_add_f32_e32 v25, v25, v26
	v_add_f32_e32 v26, v39, v52
	v_add_f32_e32 v27, v40, v27
	v_fmac_f32_e32 v16, 0x3e9e377a, v63
	v_fmac_f32_e32 v17, 0x3e9e377a, v31
	;; [unrolled: 1-line block ×16, first 2 shown]
	ds_write2_b64 v8, v[24:25], v[26:27] offset1:250
	ds_write2_b64 v1, v[16:17], v[20:21] offset0:4 offset1:254
	ds_write2_b64 v6, v[18:19], v[22:23] offset1:250
	ds_write2_b64 v7, v[12:13], v[44:45] offset0:4 offset1:254
	ds_write2_b64 v9, v[10:11], v[14:15] offset1:250
	s_waitcnt lgkmcnt(0)
	s_barrier
	buffer_gl0_inv
	s_and_saveexec_b32 s0, vcc_lo
	s_cbranch_execz .LBB0_19
; %bb.18:
	v_lshl_add_u32 v20, v0, 3, 0
	v_mov_b32_e32 v1, v5
	v_add_nc_u32_e32 v4, 0xfa, v0
	v_add_co_u32 v22, vcc_lo, s2, v2
	ds_read2_b64 v[6:9], v20 offset1:250
	v_lshlrev_b64 v[10:11], 3, v[0:1]
	v_lshlrev_b64 v[12:13], 3, v[4:5]
	v_add_co_ci_u32_e32 v23, vcc_lo, s3, v3, vcc_lo
	v_add_nc_u32_e32 v4, 0x1f4, v0
	v_add_nc_u32_e32 v3, 0xf80, v20
	v_add_co_u32 v14, vcc_lo, v22, v10
	v_add_co_ci_u32_e32 v15, vcc_lo, v23, v11, vcc_lo
	v_add_co_u32 v16, vcc_lo, v22, v12
	v_add_co_ci_u32_e32 v17, vcc_lo, v23, v13, vcc_lo
	v_add_nc_u32_e32 v18, 0x1f40, v20
	v_lshlrev_b64 v[1:2], 3, v[4:5]
	v_add_nc_u32_e32 v4, 0x2ee, v0
	ds_read2_b64 v[10:13], v3 offset0:4 offset1:254
	v_add_nc_u32_e32 v3, 0x2ec0, v20
	s_waitcnt lgkmcnt(1)
	global_store_dwordx2 v[14:15], v[6:7], off
	global_store_dwordx2 v[16:17], v[8:9], off
	ds_read2_b64 v[6:9], v18 offset1:250
	v_lshlrev_b64 v[14:15], 3, v[4:5]
	v_add_nc_u32_e32 v4, 0x3e8, v0
	v_add_co_u32 v1, vcc_lo, v22, v1
	v_add_co_ci_u32_e32 v2, vcc_lo, v23, v2, vcc_lo
	v_lshlrev_b64 v[16:17], 3, v[4:5]
	v_add_nc_u32_e32 v4, 0x4e2, v0
	v_add_co_u32 v14, vcc_lo, v22, v14
	v_add_co_ci_u32_e32 v15, vcc_lo, v23, v15, vcc_lo
	v_add_co_u32 v16, vcc_lo, v22, v16
	v_lshlrev_b64 v[18:19], 3, v[4:5]
	v_add_nc_u32_e32 v4, 0x5dc, v0
	v_add_co_ci_u32_e32 v17, vcc_lo, v23, v17, vcc_lo
	s_waitcnt lgkmcnt(1)
	global_store_dwordx2 v[1:2], v[10:11], off
	global_store_dwordx2 v[14:15], v[12:13], off
	s_waitcnt lgkmcnt(0)
	global_store_dwordx2 v[16:17], v[6:7], off
	v_lshlrev_b64 v[1:2], 3, v[4:5]
	v_add_nc_u32_e32 v4, 0x6d6, v0
	v_add_nc_u32_e32 v14, 0x3e80, v20
	v_add_co_u32 v6, vcc_lo, v22, v18
	v_add_co_ci_u32_e32 v7, vcc_lo, v23, v19, vcc_lo
	ds_read2_b64 v[10:13], v3 offset0:4 offset1:254
	v_lshlrev_b64 v[18:19], 3, v[4:5]
	v_add_nc_u32_e32 v4, 0x7d0, v0
	ds_read2_b64 v[14:17], v14 offset1:250
	v_add_co_u32 v1, vcc_lo, v22, v1
	v_add_co_ci_u32_e32 v2, vcc_lo, v23, v2, vcc_lo
	v_lshlrev_b64 v[20:21], 3, v[4:5]
	v_add_nc_u32_e32 v4, 0x8ca, v0
	v_add_co_u32 v18, vcc_lo, v22, v18
	v_add_co_ci_u32_e32 v19, vcc_lo, v23, v19, vcc_lo
	v_lshlrev_b64 v[3:4], 3, v[4:5]
	v_add_co_u32 v20, vcc_lo, v22, v20
	v_add_co_ci_u32_e32 v21, vcc_lo, v23, v21, vcc_lo
	v_add_co_u32 v3, vcc_lo, v22, v3
	v_add_co_ci_u32_e32 v4, vcc_lo, v23, v4, vcc_lo
	global_store_dwordx2 v[6:7], v[8:9], off
	s_waitcnt lgkmcnt(1)
	global_store_dwordx2 v[1:2], v[10:11], off
	global_store_dwordx2 v[18:19], v[12:13], off
	s_waitcnt lgkmcnt(0)
	global_store_dwordx2 v[20:21], v[14:15], off
	global_store_dwordx2 v[3:4], v[16:17], off
.LBB0_19:
	s_endpgm
	.section	.rodata,"a",@progbits
	.p2align	6, 0x0
	.amdhsa_kernel fft_rtc_back_len2500_factors_10_5_10_5_wgs_250_tpt_250_halfLds_sp_ip_CI_unitstride_sbrr_C2R_dirReg
		.amdhsa_group_segment_fixed_size 0
		.amdhsa_private_segment_fixed_size 0
		.amdhsa_kernarg_size 88
		.amdhsa_user_sgpr_count 6
		.amdhsa_user_sgpr_private_segment_buffer 1
		.amdhsa_user_sgpr_dispatch_ptr 0
		.amdhsa_user_sgpr_queue_ptr 0
		.amdhsa_user_sgpr_kernarg_segment_ptr 1
		.amdhsa_user_sgpr_dispatch_id 0
		.amdhsa_user_sgpr_flat_scratch_init 0
		.amdhsa_user_sgpr_private_segment_size 0
		.amdhsa_wavefront_size32 1
		.amdhsa_uses_dynamic_stack 0
		.amdhsa_system_sgpr_private_segment_wavefront_offset 0
		.amdhsa_system_sgpr_workgroup_id_x 1
		.amdhsa_system_sgpr_workgroup_id_y 0
		.amdhsa_system_sgpr_workgroup_id_z 0
		.amdhsa_system_sgpr_workgroup_info 0
		.amdhsa_system_vgpr_workitem_id 0
		.amdhsa_next_free_vgpr 66
		.amdhsa_next_free_sgpr 21
		.amdhsa_reserve_vcc 1
		.amdhsa_reserve_flat_scratch 0
		.amdhsa_float_round_mode_32 0
		.amdhsa_float_round_mode_16_64 0
		.amdhsa_float_denorm_mode_32 3
		.amdhsa_float_denorm_mode_16_64 3
		.amdhsa_dx10_clamp 1
		.amdhsa_ieee_mode 1
		.amdhsa_fp16_overflow 0
		.amdhsa_workgroup_processor_mode 1
		.amdhsa_memory_ordered 1
		.amdhsa_forward_progress 0
		.amdhsa_shared_vgpr_count 0
		.amdhsa_exception_fp_ieee_invalid_op 0
		.amdhsa_exception_fp_denorm_src 0
		.amdhsa_exception_fp_ieee_div_zero 0
		.amdhsa_exception_fp_ieee_overflow 0
		.amdhsa_exception_fp_ieee_underflow 0
		.amdhsa_exception_fp_ieee_inexact 0
		.amdhsa_exception_int_div_zero 0
	.end_amdhsa_kernel
	.text
.Lfunc_end0:
	.size	fft_rtc_back_len2500_factors_10_5_10_5_wgs_250_tpt_250_halfLds_sp_ip_CI_unitstride_sbrr_C2R_dirReg, .Lfunc_end0-fft_rtc_back_len2500_factors_10_5_10_5_wgs_250_tpt_250_halfLds_sp_ip_CI_unitstride_sbrr_C2R_dirReg
                                        ; -- End function
	.section	.AMDGPU.csdata,"",@progbits
; Kernel info:
; codeLenInByte = 7560
; NumSgprs: 23
; NumVgprs: 66
; ScratchSize: 0
; MemoryBound: 0
; FloatMode: 240
; IeeeMode: 1
; LDSByteSize: 0 bytes/workgroup (compile time only)
; SGPRBlocks: 2
; VGPRBlocks: 8
; NumSGPRsForWavesPerEU: 23
; NumVGPRsForWavesPerEU: 66
; Occupancy: 12
; WaveLimiterHint : 1
; COMPUTE_PGM_RSRC2:SCRATCH_EN: 0
; COMPUTE_PGM_RSRC2:USER_SGPR: 6
; COMPUTE_PGM_RSRC2:TRAP_HANDLER: 0
; COMPUTE_PGM_RSRC2:TGID_X_EN: 1
; COMPUTE_PGM_RSRC2:TGID_Y_EN: 0
; COMPUTE_PGM_RSRC2:TGID_Z_EN: 0
; COMPUTE_PGM_RSRC2:TIDIG_COMP_CNT: 0
	.text
	.p2alignl 6, 3214868480
	.fill 48, 4, 3214868480
	.type	__hip_cuid_c2eac4a1400c8290,@object ; @__hip_cuid_c2eac4a1400c8290
	.section	.bss,"aw",@nobits
	.globl	__hip_cuid_c2eac4a1400c8290
__hip_cuid_c2eac4a1400c8290:
	.byte	0                               ; 0x0
	.size	__hip_cuid_c2eac4a1400c8290, 1

	.ident	"AMD clang version 19.0.0git (https://github.com/RadeonOpenCompute/llvm-project roc-6.4.0 25133 c7fe45cf4b819c5991fe208aaa96edf142730f1d)"
	.section	".note.GNU-stack","",@progbits
	.addrsig
	.addrsig_sym __hip_cuid_c2eac4a1400c8290
	.amdgpu_metadata
---
amdhsa.kernels:
  - .args:
      - .actual_access:  read_only
        .address_space:  global
        .offset:         0
        .size:           8
        .value_kind:     global_buffer
      - .offset:         8
        .size:           8
        .value_kind:     by_value
      - .actual_access:  read_only
        .address_space:  global
        .offset:         16
        .size:           8
        .value_kind:     global_buffer
      - .actual_access:  read_only
        .address_space:  global
        .offset:         24
        .size:           8
        .value_kind:     global_buffer
      - .offset:         32
        .size:           8
        .value_kind:     by_value
      - .actual_access:  read_only
        .address_space:  global
        .offset:         40
        .size:           8
        .value_kind:     global_buffer
      - .actual_access:  read_only
        .address_space:  global
        .offset:         48
        .size:           8
        .value_kind:     global_buffer
      - .offset:         56
        .size:           4
        .value_kind:     by_value
      - .actual_access:  read_only
        .address_space:  global
        .offset:         64
        .size:           8
        .value_kind:     global_buffer
      - .actual_access:  read_only
        .address_space:  global
        .offset:         72
        .size:           8
        .value_kind:     global_buffer
      - .address_space:  global
        .offset:         80
        .size:           8
        .value_kind:     global_buffer
    .group_segment_fixed_size: 0
    .kernarg_segment_align: 8
    .kernarg_segment_size: 88
    .language:       OpenCL C
    .language_version:
      - 2
      - 0
    .max_flat_workgroup_size: 250
    .name:           fft_rtc_back_len2500_factors_10_5_10_5_wgs_250_tpt_250_halfLds_sp_ip_CI_unitstride_sbrr_C2R_dirReg
    .private_segment_fixed_size: 0
    .sgpr_count:     23
    .sgpr_spill_count: 0
    .symbol:         fft_rtc_back_len2500_factors_10_5_10_5_wgs_250_tpt_250_halfLds_sp_ip_CI_unitstride_sbrr_C2R_dirReg.kd
    .uniform_work_group_size: 1
    .uses_dynamic_stack: false
    .vgpr_count:     66
    .vgpr_spill_count: 0
    .wavefront_size: 32
    .workgroup_processor_mode: 1
amdhsa.target:   amdgcn-amd-amdhsa--gfx1030
amdhsa.version:
  - 1
  - 2
...

	.end_amdgpu_metadata
